;; amdgpu-corpus repo=ROCm/rocFFT kind=compiled arch=gfx906 opt=O3
	.text
	.amdgcn_target "amdgcn-amd-amdhsa--gfx906"
	.amdhsa_code_object_version 6
	.protected	fft_rtc_fwd_len264_factors_8_3_11_wgs_231_tpt_33_half_op_CI_CI_unitstride_sbrr_R2C_dirReg ; -- Begin function fft_rtc_fwd_len264_factors_8_3_11_wgs_231_tpt_33_half_op_CI_CI_unitstride_sbrr_R2C_dirReg
	.globl	fft_rtc_fwd_len264_factors_8_3_11_wgs_231_tpt_33_half_op_CI_CI_unitstride_sbrr_R2C_dirReg
	.p2align	8
	.type	fft_rtc_fwd_len264_factors_8_3_11_wgs_231_tpt_33_half_op_CI_CI_unitstride_sbrr_R2C_dirReg,@function
fft_rtc_fwd_len264_factors_8_3_11_wgs_231_tpt_33_half_op_CI_CI_unitstride_sbrr_R2C_dirReg: ; @fft_rtc_fwd_len264_factors_8_3_11_wgs_231_tpt_33_half_op_CI_CI_unitstride_sbrr_R2C_dirReg
; %bb.0:
	v_mul_u32_u24_e32 v1, 0x7c2, v0
	s_load_dwordx4 s[8:11], s[4:5], 0x58
	s_load_dwordx4 s[12:15], s[4:5], 0x0
	;; [unrolled: 1-line block ×3, first 2 shown]
	v_lshrrev_b32_e32 v1, 16, v1
	v_mad_u64_u32 v[5:6], s[0:1], s6, 7, v[1:2]
	v_mov_b32_e32 v7, 0
	s_waitcnt lgkmcnt(0)
	v_cmp_lt_u64_e64 s[0:1], s[14:15], 2
	v_mov_b32_e32 v10, 0
	v_mov_b32_e32 v6, v7
	;; [unrolled: 1-line block ×5, first 2 shown]
	s_and_b64 vcc, exec, s[0:1]
	v_mov_b32_e32 v2, v11
	v_mov_b32_e32 v4, v6
	s_cbranch_vccnz .LBB0_8
; %bb.1:
	s_load_dwordx2 s[0:1], s[4:5], 0x10
	s_add_u32 s2, s18, 8
	s_addc_u32 s3, s19, 0
	s_add_u32 s6, s16, 8
	s_addc_u32 s7, s17, 0
	v_mov_b32_e32 v10, 0
	s_waitcnt lgkmcnt(0)
	s_add_u32 s20, s0, 8
	v_mov_b32_e32 v11, 0
	v_mov_b32_e32 v1, v10
	;; [unrolled: 1-line block ×3, first 2 shown]
	s_addc_u32 s21, s1, 0
	s_mov_b64 s[22:23], 1
	v_mov_b32_e32 v2, v11
	v_mov_b32_e32 v12, v5
.LBB0_2:                                ; =>This Inner Loop Header: Depth=1
	s_load_dwordx2 s[24:25], s[20:21], 0x0
                                        ; implicit-def: $vgpr3_vgpr4
	s_waitcnt lgkmcnt(0)
	v_or_b32_e32 v8, s25, v13
	v_cmp_ne_u64_e32 vcc, 0, v[7:8]
	s_and_saveexec_b64 s[0:1], vcc
	s_xor_b64 s[26:27], exec, s[0:1]
	s_cbranch_execz .LBB0_4
; %bb.3:                                ;   in Loop: Header=BB0_2 Depth=1
	v_cvt_f32_u32_e32 v3, s24
	v_cvt_f32_u32_e32 v4, s25
	s_sub_u32 s0, 0, s24
	s_subb_u32 s1, 0, s25
	v_mac_f32_e32 v3, 0x4f800000, v4
	v_rcp_f32_e32 v3, v3
	v_mul_f32_e32 v3, 0x5f7ffffc, v3
	v_mul_f32_e32 v4, 0x2f800000, v3
	v_trunc_f32_e32 v4, v4
	v_mac_f32_e32 v3, 0xcf800000, v4
	v_cvt_u32_f32_e32 v4, v4
	v_cvt_u32_f32_e32 v3, v3
	v_mul_lo_u32 v6, s0, v4
	v_mul_hi_u32 v8, s0, v3
	v_mul_lo_u32 v14, s1, v3
	v_mul_lo_u32 v9, s0, v3
	v_add_u32_e32 v6, v8, v6
	v_add_u32_e32 v6, v6, v14
	v_mul_hi_u32 v8, v3, v9
	v_mul_lo_u32 v14, v3, v6
	v_mul_hi_u32 v16, v3, v6
	v_mul_hi_u32 v15, v4, v9
	v_mul_lo_u32 v9, v4, v9
	v_mul_hi_u32 v17, v4, v6
	v_add_co_u32_e32 v8, vcc, v8, v14
	v_addc_co_u32_e32 v14, vcc, 0, v16, vcc
	v_mul_lo_u32 v6, v4, v6
	v_add_co_u32_e32 v8, vcc, v8, v9
	v_addc_co_u32_e32 v8, vcc, v14, v15, vcc
	v_addc_co_u32_e32 v9, vcc, 0, v17, vcc
	v_add_co_u32_e32 v6, vcc, v8, v6
	v_addc_co_u32_e32 v8, vcc, 0, v9, vcc
	v_add_co_u32_e32 v3, vcc, v3, v6
	v_addc_co_u32_e32 v4, vcc, v4, v8, vcc
	v_mul_lo_u32 v6, s0, v4
	v_mul_hi_u32 v8, s0, v3
	v_mul_lo_u32 v9, s1, v3
	v_mul_lo_u32 v14, s0, v3
	v_add_u32_e32 v6, v8, v6
	v_add_u32_e32 v6, v6, v9
	v_mul_lo_u32 v15, v3, v6
	v_mul_hi_u32 v16, v3, v14
	v_mul_hi_u32 v17, v3, v6
	;; [unrolled: 1-line block ×3, first 2 shown]
	v_mul_lo_u32 v14, v4, v14
	v_mul_hi_u32 v8, v4, v6
	v_add_co_u32_e32 v15, vcc, v16, v15
	v_addc_co_u32_e32 v16, vcc, 0, v17, vcc
	v_mul_lo_u32 v6, v4, v6
	v_add_co_u32_e32 v14, vcc, v15, v14
	v_addc_co_u32_e32 v9, vcc, v16, v9, vcc
	v_addc_co_u32_e32 v8, vcc, 0, v8, vcc
	v_add_co_u32_e32 v6, vcc, v9, v6
	v_addc_co_u32_e32 v8, vcc, 0, v8, vcc
	v_add_co_u32_e32 v6, vcc, v3, v6
	v_addc_co_u32_e32 v8, vcc, v4, v8, vcc
	v_mad_u64_u32 v[3:4], s[0:1], v12, v8, 0
	v_mul_hi_u32 v9, v12, v6
	v_add_co_u32_e32 v14, vcc, v9, v3
	v_addc_co_u32_e32 v15, vcc, 0, v4, vcc
	v_mad_u64_u32 v[3:4], s[0:1], v13, v6, 0
	v_mad_u64_u32 v[8:9], s[0:1], v13, v8, 0
	v_add_co_u32_e32 v3, vcc, v14, v3
	v_addc_co_u32_e32 v3, vcc, v15, v4, vcc
	v_addc_co_u32_e32 v4, vcc, 0, v9, vcc
	v_add_co_u32_e32 v6, vcc, v3, v8
	v_addc_co_u32_e32 v8, vcc, 0, v4, vcc
	v_mul_lo_u32 v9, s25, v6
	v_mul_lo_u32 v14, s24, v8
	v_mad_u64_u32 v[3:4], s[0:1], s24, v6, 0
	v_add3_u32 v4, v4, v14, v9
	v_sub_u32_e32 v9, v13, v4
	v_mov_b32_e32 v14, s25
	v_sub_co_u32_e32 v3, vcc, v12, v3
	v_subb_co_u32_e64 v9, s[0:1], v9, v14, vcc
	v_subrev_co_u32_e64 v14, s[0:1], s24, v3
	v_subbrev_co_u32_e64 v9, s[0:1], 0, v9, s[0:1]
	v_cmp_le_u32_e64 s[0:1], s25, v9
	v_cndmask_b32_e64 v15, 0, -1, s[0:1]
	v_cmp_le_u32_e64 s[0:1], s24, v14
	v_cndmask_b32_e64 v14, 0, -1, s[0:1]
	v_cmp_eq_u32_e64 s[0:1], s25, v9
	v_cndmask_b32_e64 v9, v15, v14, s[0:1]
	v_add_co_u32_e64 v14, s[0:1], 2, v6
	v_addc_co_u32_e64 v15, s[0:1], 0, v8, s[0:1]
	v_add_co_u32_e64 v16, s[0:1], 1, v6
	v_addc_co_u32_e64 v17, s[0:1], 0, v8, s[0:1]
	v_subb_co_u32_e32 v4, vcc, v13, v4, vcc
	v_cmp_ne_u32_e64 s[0:1], 0, v9
	v_cmp_le_u32_e32 vcc, s25, v4
	v_cndmask_b32_e64 v9, v17, v15, s[0:1]
	v_cndmask_b32_e64 v15, 0, -1, vcc
	v_cmp_le_u32_e32 vcc, s24, v3
	v_cndmask_b32_e64 v3, 0, -1, vcc
	v_cmp_eq_u32_e32 vcc, s25, v4
	v_cndmask_b32_e32 v3, v15, v3, vcc
	v_cmp_ne_u32_e32 vcc, 0, v3
	v_cndmask_b32_e64 v3, v16, v14, s[0:1]
	v_cndmask_b32_e32 v4, v8, v9, vcc
	v_cndmask_b32_e32 v3, v6, v3, vcc
.LBB0_4:                                ;   in Loop: Header=BB0_2 Depth=1
	s_andn2_saveexec_b64 s[0:1], s[26:27]
	s_cbranch_execz .LBB0_6
; %bb.5:                                ;   in Loop: Header=BB0_2 Depth=1
	v_cvt_f32_u32_e32 v3, s24
	s_sub_i32 s26, 0, s24
	v_rcp_iflag_f32_e32 v3, v3
	v_mul_f32_e32 v3, 0x4f7ffffe, v3
	v_cvt_u32_f32_e32 v3, v3
	v_mul_lo_u32 v4, s26, v3
	v_mul_hi_u32 v4, v3, v4
	v_add_u32_e32 v3, v3, v4
	v_mul_hi_u32 v3, v12, v3
	v_mul_lo_u32 v4, v3, s24
	v_add_u32_e32 v6, 1, v3
	v_sub_u32_e32 v4, v12, v4
	v_subrev_u32_e32 v8, s24, v4
	v_cmp_le_u32_e32 vcc, s24, v4
	v_cndmask_b32_e32 v4, v4, v8, vcc
	v_cndmask_b32_e32 v3, v3, v6, vcc
	v_add_u32_e32 v6, 1, v3
	v_cmp_le_u32_e32 vcc, s24, v4
	v_cndmask_b32_e32 v3, v3, v6, vcc
	v_mov_b32_e32 v4, v7
.LBB0_6:                                ;   in Loop: Header=BB0_2 Depth=1
	s_or_b64 exec, exec, s[0:1]
	v_mul_lo_u32 v6, v4, s24
	v_mul_lo_u32 v14, v3, s25
	v_mad_u64_u32 v[8:9], s[0:1], v3, s24, 0
	s_load_dwordx2 s[0:1], s[6:7], 0x0
	s_load_dwordx2 s[24:25], s[2:3], 0x0
	v_add3_u32 v6, v9, v14, v6
	v_sub_co_u32_e32 v8, vcc, v12, v8
	v_subb_co_u32_e32 v6, vcc, v13, v6, vcc
	s_waitcnt lgkmcnt(0)
	v_mul_lo_u32 v9, s0, v6
	v_mul_lo_u32 v12, s1, v8
	v_mad_u64_u32 v[10:11], s[0:1], s0, v8, v[10:11]
	s_add_u32 s22, s22, 1
	s_addc_u32 s23, s23, 0
	s_add_u32 s2, s2, 8
	v_mul_lo_u32 v6, s24, v6
	v_mul_lo_u32 v13, s25, v8
	v_mad_u64_u32 v[1:2], s[0:1], s24, v8, v[1:2]
	v_add3_u32 v11, v12, v11, v9
	s_addc_u32 s3, s3, 0
	v_mov_b32_e32 v8, s14
	s_add_u32 s6, s6, 8
	v_mov_b32_e32 v9, s15
	s_addc_u32 s7, s7, 0
	v_cmp_ge_u64_e32 vcc, s[22:23], v[8:9]
	s_add_u32 s20, s20, 8
	v_add3_u32 v2, v13, v2, v6
	s_addc_u32 s21, s21, 0
	s_cbranch_vccnz .LBB0_8
; %bb.7:                                ;   in Loop: Header=BB0_2 Depth=1
	v_mov_b32_e32 v13, v4
	v_mov_b32_e32 v12, v3
	s_branch .LBB0_2
.LBB0_8:
	s_mov_b32 s0, 0x24924925
	v_mul_hi_u32 v6, v5, s0
	s_load_dwordx2 s[0:1], s[4:5], 0x28
	s_lshl_b64 s[6:7], s[14:15], 3
	s_add_u32 s2, s18, s6
	v_sub_u32_e32 v7, v5, v6
	v_lshrrev_b32_e32 v7, 1, v7
	v_add_u32_e32 v6, v7, v6
	v_lshrrev_b32_e32 v6, 2, v6
	v_mul_lo_u32 v6, v6, 7
	s_waitcnt lgkmcnt(0)
	v_cmp_gt_u64_e32 vcc, s[0:1], v[3:4]
	v_cmp_le_u64_e64 s[0:1], s[0:1], v[3:4]
	s_addc_u32 s3, s19, s7
	v_sub_u32_e32 v6, v5, v6
                                        ; implicit-def: $vgpr5
                                        ; implicit-def: $vgpr7
                                        ; implicit-def: $vgpr9
	s_and_saveexec_b64 s[4:5], s[0:1]
	s_xor_b64 s[0:1], exec, s[4:5]
; %bb.9:
	s_mov_b32 s4, 0x7c1f07d
	v_mul_hi_u32 v5, v0, s4
                                        ; implicit-def: $vgpr10_vgpr11
	v_mul_u32_u24_e32 v5, 33, v5
	v_sub_u32_e32 v5, v0, v5
	v_add_u32_e32 v7, 33, v5
	v_add_u32_e32 v9, 0x42, v5
                                        ; implicit-def: $vgpr0
; %bb.10:
	s_or_saveexec_b64 s[4:5], s[0:1]
	v_mul_u32_u24_e32 v6, 0x109, v6
	v_lshlrev_b32_e32 v18, 2, v6
	s_xor_b64 exec, exec, s[4:5]
	s_cbranch_execz .LBB0_12
; %bb.11:
	s_add_u32 s0, s16, s6
	s_addc_u32 s1, s17, s7
	s_load_dwordx2 s[0:1], s[0:1], 0x0
	s_mov_b32 s6, 0x7c1f07d
	v_mul_hi_u32 v5, v0, s6
	s_waitcnt lgkmcnt(0)
	v_mul_lo_u32 v8, s1, v3
	v_mul_lo_u32 v9, s0, v4
	v_mad_u64_u32 v[6:7], s[0:1], s0, v3, 0
	v_mul_u32_u24_e32 v5, 33, v5
	v_sub_u32_e32 v5, v0, v5
	v_add3_u32 v7, v7, v9, v8
	v_lshlrev_b64 v[6:7], 2, v[6:7]
	v_mov_b32_e32 v0, s9
	v_add_co_u32_e64 v8, s[0:1], s8, v6
	v_addc_co_u32_e64 v0, s[0:1], v0, v7, s[0:1]
	v_lshlrev_b64 v[6:7], 2, v[10:11]
	v_add_u32_e32 v9, 0x42, v5
	v_add_co_u32_e64 v6, s[0:1], v8, v6
	v_addc_co_u32_e64 v0, s[0:1], v0, v7, s[0:1]
	v_lshlrev_b32_e32 v8, 2, v5
	v_add_co_u32_e64 v6, s[0:1], v6, v8
	v_addc_co_u32_e64 v7, s[0:1], 0, v0, s[0:1]
	global_load_dword v0, v[6:7], off
	global_load_dword v10, v[6:7], off offset:132
	global_load_dword v11, v[6:7], off offset:264
	;; [unrolled: 1-line block ×7, first 2 shown]
	v_add_u32_e32 v7, 33, v5
	v_add3_u32 v6, 0, v18, v8
	s_waitcnt vmcnt(6)
	ds_write2_b32 v6, v0, v10 offset1:33
	s_waitcnt vmcnt(4)
	ds_write2_b32 v6, v11, v12 offset0:66 offset1:99
	s_waitcnt vmcnt(2)
	ds_write2_b32 v6, v13, v14 offset0:132 offset1:165
	;; [unrolled: 2-line block ×3, first 2 shown]
.LBB0_12:
	s_or_b64 exec, exec, s[4:5]
	v_lshlrev_b32_e32 v6, 2, v5
	v_add_u32_e32 v0, 0, v18
	v_add3_u32 v8, 0, v6, v18
	s_load_dwordx2 s[2:3], s[2:3], 0x0
	s_waitcnt lgkmcnt(0)
	s_barrier
	v_add_u32_e32 v20, v0, v6
	ds_read2_b32 v[10:11], v8 offset0:99 offset1:132
	ds_read_b32 v16, v20
	ds_read2_b32 v[12:13], v8 offset0:33 offset1:66
	ds_read2_b32 v[14:15], v8 offset0:165 offset1:198
	ds_read_b32 v17, v8 offset:924
	s_mov_b32 s0, 0xb9a8
	s_waitcnt lgkmcnt(3)
	v_pk_add_f16 v11, v16, v11 neg_lo:[0,1] neg_hi:[0,1]
	v_lshrrev_b32_e32 v19, 16, v11
	s_waitcnt lgkmcnt(1)
	v_pk_add_f16 v15, v13, v15 neg_lo:[0,1] neg_hi:[0,1]
	v_pk_add_f16 v14, v12, v14 neg_lo:[0,1] neg_hi:[0,1]
	s_waitcnt lgkmcnt(0)
	v_pk_add_f16 v17, v10, v17 neg_lo:[0,1] neg_hi:[0,1]
	v_sub_f16_sdwa v21, v11, v15 dst_sel:DWORD dst_unused:UNUSED_PAD src0_sel:DWORD src1_sel:WORD_1
	v_sub_f16_sdwa v22, v14, v17 dst_sel:DWORD dst_unused:UNUSED_PAD src0_sel:DWORD src1_sel:WORD_1
	v_lshrrev_b32_e32 v23, 16, v14
	v_pk_fma_f16 v16, v16, 2.0, v11 op_sel_hi:[1,0,1] neg_lo:[0,0,1] neg_hi:[0,0,1]
	v_pk_fma_f16 v13, v13, 2.0, v15 op_sel_hi:[1,0,1] neg_lo:[0,0,1] neg_hi:[0,0,1]
	;; [unrolled: 1-line block ×4, first 2 shown]
	v_add_f16_e32 v15, v19, v15
	v_fma_f16 v11, v11, 2.0, -v21
	v_add_f16_e32 v17, v23, v17
	v_fma_f16 v14, v14, 2.0, -v22
	v_fma_f16 v19, v19, 2.0, -v15
	;; [unrolled: 1-line block ×3, first 2 shown]
	v_fma_f16 v24, v14, s0, v11
	v_fma_f16 v24, v23, s0, v24
	;; [unrolled: 1-line block ×3, first 2 shown]
	s_movk_i32 s1, 0x39a8
	v_pk_add_f16 v13, v16, v13 neg_lo:[0,1] neg_hi:[0,1]
	v_pk_add_f16 v10, v12, v10 neg_lo:[0,1] neg_hi:[0,1]
	v_fma_f16 v14, v14, s1, v23
	v_pk_add_f16 v23, v13, v10 op_sel:[0,1] op_sel_hi:[1,0]
	v_lshrrev_b32_e32 v25, 16, v13
	v_lshrrev_b32_e32 v26, 16, v23
	v_fma_f16 v25, v25, 2.0, -v26
	v_pk_add_f16 v26, v13, v10 op_sel:[0,1] op_sel_hi:[1,0] neg_lo:[0,1] neg_hi:[0,1]
	v_pack_b32_f16 v19, v19, v13
	v_pack_b32_f16 v27, v14, v26
	v_pk_fma_f16 v19, v19, 2.0, v27 op_sel_hi:[1,0,1] neg_lo:[0,0,1] neg_hi:[0,0,1]
	v_fma_f16 v11, v11, 2.0, -v24
	s_mov_b32 s4, 0xffff
	v_pk_fma_f16 v12, v12, 2.0, v10 op_sel_hi:[1,0,1] neg_lo:[0,0,1] neg_hi:[0,0,1]
	v_fma_f16 v10, v17, s1, v15
	v_alignbit_b32 v25, v25, v19, 16
	v_pack_b32_f16 v11, v11, v19
	v_bfi_b32 v19, s4, v26, v23
	v_fma_f16 v23, v22, s1, v10
	v_fma_f16 v10, v22, s1, v21
	v_mad_u32_u24 v27, v5, 28, v8
	v_fma_f16 v10, v17, s0, v10
	s_barrier
	ds_write2_b32 v27, v11, v25 offset0:1 offset1:2
	v_pk_fma_f16 v11, v16, 2.0, v13 op_sel_hi:[1,0,1] neg_lo:[0,0,1] neg_hi:[0,0,1]
	v_fma_f16 v13, v21, 2.0, -v10
	v_fma_f16 v15, v15, 2.0, -v23
	v_pk_add_f16 v12, v11, v12 neg_lo:[0,1] neg_hi:[0,1]
	v_pack_b32_f16 v13, v13, v15
	v_pk_fma_f16 v11, v11, 2.0, v12 op_sel_hi:[1,0,1] neg_lo:[0,0,1] neg_hi:[0,0,1]
	ds_write2_b32 v27, v13, v12 offset0:3 offset1:4
	v_pack_b32_f16 v12, v24, v14
	ds_write2_b32 v27, v12, v19 offset0:5 offset1:6
	v_pack_b32_f16 v12, v10, v23
	ds_write2_b32 v27, v11, v12 offset1:7
	s_waitcnt lgkmcnt(0)
	s_barrier
	ds_read2_b32 v[12:13], v8 offset0:88 offset1:121
	v_lshl_add_u32 v21, v7, 2, v0
	ds_read_b32 v22, v20
	ds_read_u16 v17, v20 offset:2
	ds_read_b32 v16, v21
	ds_read2_b32 v[14:15], v8 offset0:176 offset1:209
	v_cmp_gt_u32_e64 s[0:1], 22, v5
                                        ; implicit-def: $vgpr24
	s_and_saveexec_b64 s[4:5], s[0:1]
	s_cbranch_execz .LBB0_14
; %bb.13:
	v_lshlrev_b32_e32 v19, 2, v9
	ds_read2_b32 v[10:11], v8 offset0:154 offset1:242
	v_add3_u32 v19, 0, v19, v18
	ds_read_b32 v19, v19
	s_waitcnt lgkmcnt(1)
	v_lshrrev_b32_e32 v23, 16, v10
	v_lshrrev_b32_e32 v24, 16, v11
.LBB0_14:
	s_or_b64 exec, exec, s[4:5]
	v_and_b32_e32 v31, 7, v5
	v_lshlrev_b32_e32 v25, 3, v31
	v_and_b32_e32 v33, 7, v7
	v_and_b32_e32 v32, 7, v9
	global_load_dwordx2 v[25:26], v25, s[12:13]
	v_lshlrev_b32_e32 v27, 3, v33
	global_load_dwordx2 v[27:28], v27, s[12:13]
	v_lshlrev_b32_e32 v29, 3, v32
	global_load_dwordx2 v[29:30], v29, s[12:13]
	v_lshrrev_b32_e32 v39, 3, v7
	v_mul_lo_u32 v39, v39, 24
	v_lshrrev_b32_e32 v38, 3, v5
	s_waitcnt lgkmcnt(4)
	v_lshrrev_b32_e32 v34, 16, v12
	s_waitcnt lgkmcnt(0)
	v_lshrrev_b32_e32 v35, 16, v14
	v_mul_u32_u24_e32 v38, 24, v38
	v_lshrrev_b32_e32 v36, 16, v13
	v_lshrrev_b32_e32 v37, 16, v15
	v_or_b32_e32 v31, v38, v31
	v_or_b32_e32 v33, v39, v33
	v_lshrrev_b32_e32 v40, 16, v16
	s_movk_i32 s4, 0x3aee
	s_mov_b32 s5, 0xbaee
	v_lshlrev_b32_e32 v31, 2, v31
	v_add3_u32 v31, 0, v31, v18
	v_lshlrev_b32_e32 v33, 2, v33
	s_waitcnt vmcnt(0)
	s_barrier
	v_add3_u32 v33, 0, v33, v18
	v_mul_f16_sdwa v38, v25, v12 dst_sel:DWORD dst_unused:UNUSED_PAD src0_sel:WORD_1 src1_sel:DWORD
	v_mul_f16_sdwa v39, v25, v34 dst_sel:DWORD dst_unused:UNUSED_PAD src0_sel:WORD_1 src1_sel:DWORD
	;; [unrolled: 1-line block ×8, first 2 shown]
	v_mul_f16_sdwa v47, v23, v29 dst_sel:DWORD dst_unused:UNUSED_PAD src0_sel:DWORD src1_sel:WORD_1
	v_mul_f16_sdwa v48, v24, v30 dst_sel:DWORD dst_unused:UNUSED_PAD src0_sel:DWORD src1_sel:WORD_1
	;; [unrolled: 1-line block ×3, first 2 shown]
	v_fma_f16 v34, v25, v34, v38
	v_fma_f16 v35, v26, v35, v41
	v_fma_f16 v12, v25, v12, -v39
	v_fma_f16 v14, v26, v14, -v42
	v_mul_f16_sdwa v49, v10, v29 dst_sel:DWORD dst_unused:UNUSED_PAD src0_sel:DWORD src1_sel:WORD_1
	v_fma_f16 v13, v27, v13, -v43
	v_fma_f16 v15, v28, v15, -v45
	v_fma_f16 v25, v27, v36, v44
	v_fma_f16 v26, v28, v37, v46
	v_fma_f16 v27, v10, v29, -v47
	v_fma_f16 v36, v11, v30, -v48
	v_fma_f16 v38, v24, v30, v50
	v_add_f16_e32 v10, v12, v14
	v_add_f16_e32 v30, v34, v35
	v_fma_f16 v37, v23, v29, v49
	v_sub_f16_e32 v11, v34, v35
	v_add_f16_e32 v23, v27, v36
	v_add_f16_e32 v24, v12, v22
	v_sub_f16_e32 v29, v12, v14
	v_add_f16_e32 v12, v17, v34
	v_sub_f16_e32 v34, v25, v26
	v_add_f16_e32 v39, v40, v25
	v_add_f16_e32 v25, v25, v26
	;; [unrolled: 1-line block ×3, first 2 shown]
	v_fma_f16 v10, v10, -0.5, v22
	v_fma_f16 v17, v30, -0.5, v17
	v_sub_f16_e32 v28, v37, v38
	v_add_f16_e32 v42, v16, v13
	v_sub_f16_e32 v43, v13, v15
	v_fma_f16 v44, v23, -0.5, v19
	v_add_f16_e32 v22, v24, v14
	v_add_f16_e32 v23, v12, v35
	;; [unrolled: 1-line block ×3, first 2 shown]
	v_fma_f16 v30, v25, -0.5, v40
	v_fma_f16 v16, v41, -0.5, v16
	v_fma_f16 v12, v11, s4, v10
	v_fma_f16 v13, v11, s5, v10
	;; [unrolled: 1-line block ×4, first 2 shown]
	v_add_f16_e32 v14, v42, v15
	v_fma_f16 v10, v28, s4, v44
	v_fma_f16 v11, v28, s5, v44
	v_pack_b32_f16 v35, v22, v23
	v_fma_f16 v15, v34, s4, v16
	v_fma_f16 v28, v43, s5, v30
	v_pack_b32_f16 v17, v12, v25
	v_pack_b32_f16 v29, v13, v26
	ds_write2_b32 v31, v35, v17 offset1:8
	ds_write_b32 v31, v29 offset:64
	v_pack_b32_f16 v17, v14, v24
	v_pack_b32_f16 v29, v15, v28
	ds_write2_b32 v33, v17, v29 offset1:8
	v_add_f16_e32 v17, v19, v27
	v_lshrrev_b32_e32 v19, 16, v19
	v_add_f16_e32 v31, v37, v38
	v_fma_f16 v29, v43, s4, v30
	v_fma_f16 v16, v34, s5, v16
	v_add_f16_e32 v30, v19, v37
	v_fma_f16 v19, v31, -0.5, v19
	v_sub_f16_e32 v27, v27, v36
	v_add_f16_e32 v17, v17, v36
	v_add_f16_e32 v30, v30, v38
	v_fma_f16 v31, v27, s5, v19
	v_fma_f16 v27, v27, s4, v19
	v_pack_b32_f16 v19, v16, v29
	ds_write_b32 v33, v19 offset:64
	s_and_saveexec_b64 s[4:5], s[0:1]
	s_cbranch_execz .LBB0_16
; %bb.15:
	v_lshrrev_b32_e32 v19, 3, v9
	v_mul_lo_u32 v19, v19, 24
	s_mov_b32 s0, 0x5040100
	v_perm_b32 v33, v30, v17, s0
	v_perm_b32 v34, v31, v10, s0
	v_or_b32_e32 v19, v19, v32
	v_lshlrev_b32_e32 v19, 2, v19
	v_add3_u32 v18, 0, v19, v18
	v_perm_b32 v19, v27, v11, s0
	ds_write2_b32 v18, v33, v34 offset1:8
	ds_write_b32 v18, v19 offset:64
.LBB0_16:
	s_or_b64 exec, exec, s[4:5]
	v_cmp_gt_u32_e64 s[0:1], 24, v5
	s_waitcnt lgkmcnt(0)
	s_barrier
	s_waitcnt lgkmcnt(0)
                                        ; implicit-def: $vgpr33
                                        ; implicit-def: $vgpr19
                                        ; implicit-def: $vgpr32
	s_and_saveexec_b64 s[4:5], s[0:1]
	s_cbranch_execz .LBB0_18
; %bb.17:
	ds_read_b32 v22, v20
	ds_read2_b32 v[12:13], v8 offset0:24 offset1:48
	ds_read2_b32 v[10:11], v8 offset0:168 offset1:192
	;; [unrolled: 1-line block ×5, first 2 shown]
	s_waitcnt lgkmcnt(5)
	v_lshrrev_b32_e32 v23, 16, v22
	s_waitcnt lgkmcnt(3)
	v_lshrrev_b32_e32 v27, 16, v11
	;; [unrolled: 2-line block ×3, first 2 shown]
	v_lshrrev_b32_e32 v33, 16, v19
	v_lshrrev_b32_e32 v25, 16, v12
	;; [unrolled: 1-line block ×3, first 2 shown]
	s_waitcnt lgkmcnt(1)
	v_lshrrev_b32_e32 v24, 16, v14
	v_lshrrev_b32_e32 v28, 16, v15
	s_waitcnt lgkmcnt(0)
	v_lshrrev_b32_e32 v29, 16, v16
	v_lshrrev_b32_e32 v30, 16, v17
	v_lshrrev_b32_e32 v31, 16, v10
.LBB0_18:
	s_or_b64 exec, exec, s[4:5]
	s_barrier
	s_and_saveexec_b64 s[4:5], s[0:1]
	s_cbranch_execz .LBB0_20
; %bb.19:
	v_subrev_u32_e32 v34, 24, v5
	v_cndmask_b32_e64 v34, v34, v5, s[0:1]
	v_mul_i32_i24_e32 v34, 10, v34
	v_mov_b32_e32 v35, 0
	v_lshlrev_b64 v[34:35], 2, v[34:35]
	v_mov_b32_e32 v36, s13
	v_add_co_u32_e64 v42, s[0:1], s12, v34
	v_addc_co_u32_e64 v43, s[0:1], v36, v35, s[0:1]
	global_load_dwordx4 v[34:37], v[42:43], off offset:64
	global_load_dwordx2 v[44:45], v[42:43], off offset:96
	global_load_dwordx4 v[38:41], v[42:43], off offset:80
	s_mov_b32 s0, 0xb93d
	s_movk_i32 s14, 0x3a0c
	s_mov_b32 s1, 0xb08e
	s_mov_b32 s9, 0xbbeb
	s_movk_i32 s15, 0x3853
	s_movk_i32 s16, 0x3482
	s_mov_b32 s17, 0xbb47
	s_movk_i32 s6, 0x3abb
	s_mov_b32 s7, 0xbbad
	;; [unrolled: 2-line block ×3, first 2 shown]
	s_waitcnt vmcnt(2)
	v_mul_f16_sdwa v46, v12, v34 dst_sel:DWORD dst_unused:UNUSED_PAD src0_sel:DWORD src1_sel:WORD_1
	s_waitcnt vmcnt(1)
	v_mul_f16_sdwa v52, v19, v45 dst_sel:DWORD dst_unused:UNUSED_PAD src0_sel:DWORD src1_sel:WORD_1
	v_mul_f16_sdwa v42, v25, v34 dst_sel:DWORD dst_unused:UNUSED_PAD src0_sel:DWORD src1_sel:WORD_1
	;; [unrolled: 1-line block ×5, first 2 shown]
	s_waitcnt vmcnt(0)
	v_mul_f16_sdwa v60, v17, v39 dst_sel:DWORD dst_unused:UNUSED_PAD src0_sel:DWORD src1_sel:WORD_1
	v_mul_f16_sdwa v63, v30, v39 dst_sel:DWORD dst_unused:UNUSED_PAD src0_sel:DWORD src1_sel:WORD_1
	v_fma_f16 v25, v25, v34, v46
	v_fma_f16 v33, v33, v45, v52
	v_mul_f16_sdwa v43, v26, v35 dst_sel:DWORD dst_unused:UNUSED_PAD src0_sel:DWORD src1_sel:WORD_1
	v_mul_f16_sdwa v48, v24, v36 dst_sel:DWORD dst_unused:UNUSED_PAD src0_sel:DWORD src1_sel:WORD_1
	;; [unrolled: 1-line block ×10, first 2 shown]
	v_fma_f16 v12, v12, v34, -v42
	v_fma_f16 v26, v26, v35, v47
	v_fma_f16 v19, v19, v45, -v53
	v_fma_f16 v32, v32, v44, v54
	v_fma_f16 v30, v30, v39, v60
	v_fma_f16 v17, v17, v39, -v63
	v_add_f16_e32 v34, v25, v33
	v_sub_f16_e32 v39, v25, v33
	v_mul_f16_sdwa v58, v10, v40 dst_sel:DWORD dst_unused:UNUSED_PAD src0_sel:DWORD src1_sel:WORD_1
	v_mul_f16_sdwa v59, v31, v40 dst_sel:DWORD dst_unused:UNUSED_PAD src0_sel:DWORD src1_sel:WORD_1
	v_fma_f16 v13, v13, v35, -v43
	v_fma_f16 v14, v14, v36, -v48
	;; [unrolled: 1-line block ×3, first 2 shown]
	v_fma_f16 v24, v24, v36, v50
	v_fma_f16 v28, v28, v37, v51
	v_fma_f16 v18, v18, v44, -v55
	v_fma_f16 v27, v27, v41, v56
	v_fma_f16 v11, v11, v41, -v57
	;; [unrolled: 2-line block ×3, first 2 shown]
	v_sub_f16_e32 v35, v12, v19
	v_add_f16_e32 v36, v26, v32
	v_add_f16_e32 v38, v12, v19
	v_sub_f16_e32 v41, v26, v32
	v_mul_f16_e32 v49, 0xb93d, v34
	v_mul_f16_e32 v51, 0xba0c, v39
	v_fma_f16 v31, v31, v40, v58
	v_fma_f16 v10, v10, v40, -v59
	v_sub_f16_e32 v37, v13, v18
	v_add_f16_e32 v40, v13, v18
	v_add_f16_e32 v42, v24, v27
	v_mul_f16_e32 v50, 0xb08e, v36
	v_mul_f16_e32 v52, 0x3beb, v41
	v_fma_f16 v56, v35, s14, v49
	v_fma_f16 v58, v38, s0, v51
	v_sub_f16_e32 v43, v14, v11
	v_add_f16_e32 v44, v28, v31
	v_mul_f16_e32 v53, 0x3abb, v42
	v_fma_f16 v57, v37, s9, v50
	v_fma_f16 v59, v40, s1, v52
	v_add_f16_e32 v56, v23, v56
	v_add_f16_e32 v58, v22, v58
	v_sub_f16_e32 v45, v15, v10
	v_add_f16_e32 v46, v29, v30
	v_mul_f16_e32 v54, 0xbbad, v44
	v_fma_f16 v60, v43, s15, v53
	v_add_f16_e32 v56, v57, v56
	v_add_f16_e32 v57, v59, v58
	v_sub_f16_e32 v58, v24, v27
	v_sub_f16_e32 v47, v16, v17
	v_add_f16_e32 v48, v14, v11
	v_mul_f16_e32 v55, 0x36a6, v46
	v_fma_f16 v61, v45, s16, v54
	v_add_f16_e32 v56, v60, v56
	v_mul_f16_e32 v59, 0xb853, v58
	v_fma_f16 v62, v47, s17, v55
	v_add_f16_e32 v56, v61, v56
	v_fma_f16 v60, v48, s6, v59
	v_sub_f16_e32 v61, v28, v31
	v_add_f16_e32 v56, v62, v56
	v_add_f16_e32 v57, v60, v57
	;; [unrolled: 1-line block ×3, first 2 shown]
	v_mul_f16_e32 v62, 0xb482, v61
	v_fma_f16 v63, v60, s7, v62
	v_sub_f16_e32 v64, v29, v30
	v_add_f16_e32 v57, v63, v57
	v_add_f16_e32 v63, v16, v17
	v_mul_f16_e32 v65, 0x3b47, v64
	v_fma_f16 v66, v63, s8, v65
	v_add_f16_e32 v57, v66, v57
	v_mul_f16_e32 v66, 0xbbad, v34
	v_fma_f16 v67, v35, s16, v66
	v_mul_f16_e32 v68, 0x3abb, v36
	v_add_f16_e32 v67, v23, v67
	v_fma_f16 v69, v37, s18, v68
	v_add_f16_e32 v67, v69, v67
	v_mul_f16_e32 v69, 0xb93d, v42
	v_fma_f16 v68, v37, s15, v68
	s_mov_b32 s15, 0xba0c
	v_fma_f16 v70, v43, s14, v69
	s_movk_i32 s14, 0x3beb
	v_fma_f16 v49, v35, s15, v49
	v_add_f16_e32 v49, v23, v49
	v_fma_f16 v50, v37, s14, v50
	v_add_f16_e32 v67, v70, v67
	v_mul_f16_e32 v70, 0x36a6, v44
	s_mov_b32 s16, 0xb482
	v_add_f16_e32 v49, v50, v49
	v_fma_f16 v50, v43, s18, v53
	v_fma_f16 v71, v45, s17, v70
	s_movk_i32 s17, 0x3b47
	v_add_f16_e32 v49, v50, v49
	v_fma_f16 v50, v45, s16, v54
	v_add_f16_e32 v49, v50, v49
	v_fma_f16 v50, v47, s17, v55
	v_add_f16_e32 v49, v50, v49
	v_fma_f16 v50, v38, s0, -v51
	v_add_f16_e32 v50, v22, v50
	v_fma_f16 v51, v40, s1, -v52
	v_add_f16_e32 v50, v51, v50
	v_fma_f16 v51, v48, s6, -v59
	v_add_f16_e32 v50, v51, v50
	v_fma_f16 v51, v60, s7, -v62
	v_add_f16_e32 v67, v71, v67
	v_mul_f16_e32 v71, 0xb08e, v46
	v_add_f16_e32 v50, v51, v50
	v_fma_f16 v51, v63, s8, -v65
	v_fma_f16 v72, v47, s14, v71
	v_fma_f16 v66, v35, s16, v66
	v_add_f16_e32 v50, v51, v50
	v_mul_f16_e32 v51, 0xbbeb, v35
	v_add_f16_e32 v67, v72, v67
	v_mul_f16_e32 v72, 0xb482, v39
	v_add_f16_e32 v66, v23, v66
	v_fma_f16 v52, v34, s1, v51
	v_mul_f16_e32 v53, 0x3482, v37
	v_fma_f16 v73, v38, s7, v72
	v_mul_f16_e32 v74, 0x3853, v41
	v_add_f16_e32 v66, v68, v66
	v_fma_f16 v68, v43, s15, v69
	v_add_f16_e32 v52, v23, v52
	v_fma_f16 v54, v36, s7, v53
	;; [unrolled: 2-line block ×4, first 2 shown]
	v_add_f16_e32 v52, v54, v52
	v_mul_f16_e32 v54, 0x3b47, v43
	v_add_f16_e32 v73, v75, v73
	v_mul_f16_e32 v75, 0xba0c, v58
	v_add_f16_e32 v66, v68, v66
	v_fma_f16 v68, v47, s9, v71
	v_fma_f16 v55, v42, s8, v54
	;; [unrolled: 1-line block ×3, first 2 shown]
	v_add_f16_e32 v66, v68, v66
	v_fma_f16 v68, v38, s7, -v72
	v_add_f16_e32 v52, v55, v52
	v_mul_f16_e32 v55, 0xb853, v45
	v_add_f16_e32 v73, v76, v73
	v_mul_f16_e32 v76, 0x3b47, v61
	v_add_f16_e32 v68, v22, v68
	v_fma_f16 v69, v40, s6, -v74
	v_fma_f16 v59, v44, s6, v55
	v_fma_f16 v77, v60, s8, v76
	v_add_f16_e32 v68, v69, v68
	v_fma_f16 v69, v48, s0, -v75
	v_add_f16_e32 v52, v59, v52
	v_mul_f16_e32 v59, 0xba0c, v47
	v_add_f16_e32 v73, v77, v73
	v_mul_f16_e32 v77, 0xbbeb, v64
	v_add_f16_e32 v68, v69, v68
	v_fma_f16 v69, v60, s8, -v76
	v_fma_f16 v62, v46, s0, v59
	v_add_f16_e32 v68, v69, v68
	v_fma_f16 v69, v63, s1, -v77
	v_add_f16_e32 v52, v62, v52
	v_mul_f16_e32 v62, 0xbbeb, v39
	v_add_f16_e32 v68, v69, v68
	v_fma_f16 v65, v38, s1, -v62
	v_mul_f16_e32 v69, 0x3482, v41
	v_add_f16_e32 v65, v22, v65
	v_fma_f16 v70, v40, s7, -v69
	v_add_f16_e32 v65, v70, v65
	v_mul_f16_e32 v70, 0x3b47, v58
	v_fma_f16 v71, v48, s8, -v70
	v_add_f16_e32 v65, v71, v65
	v_mul_f16_e32 v71, 0xb853, v61
	v_add_f16_e32 v12, v22, v12
	v_fma_f16 v72, v60, s6, -v71
	v_add_f16_e32 v12, v12, v13
	v_add_f16_e32 v65, v72, v65
	v_mul_f16_e32 v72, 0xba0c, v64
	v_add_f16_e32 v12, v12, v14
	v_fma_f16 v74, v63, s0, -v72
	v_add_f16_e32 v12, v12, v15
	v_add_f16_e32 v65, v74, v65
	v_mul_f16_e32 v74, 0xbb47, v35
	v_add_f16_e32 v12, v12, v16
	v_fma_f16 v75, v34, s8, v74
	v_mul_f16_e32 v76, 0xba0c, v37
	v_add_f16_e32 v12, v12, v17
	v_fma_f16 v78, v63, s1, v77
	v_add_f16_e32 v75, v23, v75
	v_fma_f16 v77, v36, s0, v76
	v_add_f16_e32 v10, v12, v10
	v_fma_f16 v12, v34, s1, -v51
	v_add_f16_e32 v75, v77, v75
	v_mul_f16_e32 v77, 0x3482, v43
	v_add_f16_e32 v12, v23, v12
	v_fma_f16 v13, v36, s7, -v53
	v_add_f16_e32 v73, v78, v73
	v_fma_f16 v78, v42, s7, v77
	v_add_f16_e32 v12, v13, v12
	v_fma_f16 v13, v42, s8, -v54
	v_add_f16_e32 v75, v78, v75
	v_mul_f16_e32 v78, 0x3beb, v45
	v_add_f16_e32 v12, v13, v12
	v_fma_f16 v13, v44, s6, -v55
	v_fma_f16 v79, v44, s1, v78
	v_add_f16_e32 v12, v13, v12
	v_fma_f16 v13, v46, s0, -v59
	v_add_f16_e32 v75, v79, v75
	v_mul_f16_e32 v79, 0x3853, v47
	v_add_f16_e32 v12, v13, v12
	v_fma_f16 v13, v38, s1, v62
	v_fma_f16 v80, v46, s6, v79
	v_add_f16_e32 v13, v22, v13
	v_fma_f16 v14, v40, s7, v69
	v_add_f16_e32 v75, v80, v75
	v_mul_f16_e32 v80, 0xbb47, v39
	v_add_f16_e32 v13, v14, v13
	v_fma_f16 v14, v48, s8, v70
	v_fma_f16 v81, v38, s8, -v80
	v_mul_f16_e32 v82, 0xba0c, v41
	v_add_f16_e32 v13, v14, v13
	v_fma_f16 v14, v60, s6, v71
	v_add_f16_e32 v81, v22, v81
	v_fma_f16 v83, v40, s0, -v82
	v_add_f16_e32 v13, v14, v13
	v_fma_f16 v14, v63, s0, v72
	v_add_f16_e32 v81, v83, v81
	v_mul_f16_e32 v83, 0x3482, v58
	v_add_f16_e32 v13, v14, v13
	v_fma_f16 v14, v34, s8, -v74
	v_fma_f16 v84, v48, s7, -v83
	v_add_f16_e32 v14, v23, v14
	v_fma_f16 v15, v36, s0, -v76
	v_add_f16_e32 v81, v84, v81
	v_mul_f16_e32 v84, 0x3beb, v61
	v_add_f16_e32 v14, v15, v14
	v_fma_f16 v15, v42, s7, -v77
	v_fma_f16 v85, v60, s1, -v84
	v_add_f16_e32 v14, v15, v14
	v_fma_f16 v15, v44, s1, -v78
	v_add_f16_e32 v81, v85, v81
	v_mul_f16_e32 v85, 0x3853, v64
	v_add_f16_e32 v14, v15, v14
	v_fma_f16 v15, v46, s6, -v79
	v_fma_f16 v86, v63, s6, -v85
	v_mul_f16_e32 v35, 0xb853, v35
	v_add_f16_e32 v14, v15, v14
	v_fma_f16 v15, v38, s8, v80
	v_add_f16_e32 v81, v86, v81
	v_fma_f16 v86, v34, s6, v35
	v_mul_f16_e32 v37, 0xbb47, v37
	v_add_f16_e32 v10, v10, v11
	v_add_f16_e32 v11, v23, v25
	;; [unrolled: 1-line block ×3, first 2 shown]
	v_fma_f16 v16, v40, s0, v82
	v_add_f16_e32 v86, v23, v86
	v_fma_f16 v87, v36, s8, v37
	v_mul_f16_e32 v43, 0xbbeb, v43
	v_add_f16_e32 v11, v11, v26
	v_add_f16_e32 v15, v16, v15
	v_fma_f16 v16, v48, s7, v83
	v_add_f16_e32 v86, v87, v86
	v_fma_f16 v87, v42, s1, v43
	v_mul_f16_e32 v45, 0xba0c, v45
	v_add_f16_e32 v11, v11, v24
	v_add_f16_e32 v15, v16, v15
	;; [unrolled: 6-line block ×4, first 2 shown]
	v_fma_f16 v16, v34, s6, -v35
	v_add_f16_e32 v86, v87, v86
	v_fma_f16 v87, v38, s6, -v39
	v_mul_f16_e32 v41, 0xbb47, v41
	v_add_f16_e32 v11, v11, v30
	v_add_f16_e32 v16, v23, v16
	v_fma_f16 v17, v36, s8, -v37
	v_add_f16_e32 v87, v22, v87
	v_fma_f16 v88, v40, s8, -v41
	v_mul_f16_e32 v58, 0xbbeb, v58
	v_add_f16_e32 v11, v11, v31
	v_add_f16_e32 v16, v17, v16
	;; [unrolled: 6-line block ×4, first 2 shown]
	v_add_f16_e32 v16, v17, v16
	v_fma_f16 v17, v46, s7, -v47
	v_add_f16_e32 v87, v88, v87
	v_fma_f16 v88, v63, s7, -v64
	v_add_f16_e32 v10, v10, v19
	v_add_f16_e32 v11, v11, v33
	;; [unrolled: 1-line block ×3, first 2 shown]
	v_fma_f16 v17, v38, s6, v39
	v_add_f16_e32 v87, v88, v87
	v_add_f16_e32 v17, v22, v17
	v_fma_f16 v18, v40, s8, v41
	v_pack_b32_f16 v10, v10, v11
	v_add_f16_e32 v17, v18, v17
	v_fma_f16 v18, v48, s1, v58
	ds_write_b32 v20, v10
	v_pack_b32_f16 v10, v87, v86
	v_pack_b32_f16 v11, v81, v75
	v_add_f16_e32 v17, v18, v17
	v_fma_f16 v18, v60, s0, v61
	ds_write2_b32 v8, v10, v11 offset0:24 offset1:48
	v_pack_b32_f16 v10, v65, v52
	v_pack_b32_f16 v11, v50, v49
	v_add_f16_e32 v17, v18, v17
	v_fma_f16 v18, v63, s7, v64
	ds_write2_b32 v8, v10, v11 offset0:72 offset1:96
	v_pack_b32_f16 v10, v68, v66
	v_pack_b32_f16 v11, v73, v67
	v_add_f16_e32 v17, v18, v17
	ds_write2_b32 v8, v10, v11 offset0:120 offset1:144
	v_pack_b32_f16 v10, v57, v56
	v_pack_b32_f16 v11, v13, v12
	ds_write2_b32 v8, v10, v11 offset0:168 offset1:192
	v_pack_b32_f16 v10, v15, v14
	v_pack_b32_f16 v11, v17, v16
	ds_write2_b32 v8, v10, v11 offset0:216 offset1:240
.LBB0_20:
	s_or_b64 exec, exec, s[4:5]
	s_waitcnt lgkmcnt(0)
	s_barrier
	ds_read_b32 v8, v20
	v_sub_u32_e32 v13, v0, v6
	v_cmp_ne_u32_e64 s[0:1], 0, v5
                                        ; implicit-def: $vgpr15
                                        ; implicit-def: $vgpr14
                                        ; implicit-def: $vgpr11_vgpr12
	s_and_saveexec_b64 s[4:5], s[0:1]
	s_xor_b64 s[4:5], exec, s[4:5]
	s_cbranch_execz .LBB0_22
; %bb.21:
	v_mov_b32_e32 v6, 0
	v_lshlrev_b64 v[10:11], 2, v[5:6]
	v_mov_b32_e32 v12, s13
	v_add_co_u32_e64 v10, s[0:1], s12, v10
	v_addc_co_u32_e64 v11, s[0:1], v12, v11, s[0:1]
	global_load_dword v10, v[10:11], off offset:1024
	ds_read_b32 v11, v13 offset:1056
	s_waitcnt lgkmcnt(0)
	v_add_f16_sdwa v14, v11, v8 dst_sel:DWORD dst_unused:UNUSED_PAD src0_sel:WORD_1 src1_sel:WORD_1
	v_sub_f16_e32 v15, v8, v11
	v_add_f16_e32 v12, v11, v8
	v_sub_f16_sdwa v8, v8, v11 dst_sel:DWORD dst_unused:UNUSED_PAD src0_sel:WORD_1 src1_sel:WORD_1
	v_mul_f16_e32 v11, 0.5, v14
	v_mul_f16_e32 v14, 0.5, v15
	;; [unrolled: 1-line block ×3, first 2 shown]
	s_waitcnt vmcnt(0)
	v_lshrrev_b32_e32 v15, 16, v10
	v_mul_f16_e32 v16, v15, v14
	v_fma_f16 v17, v11, v15, v8
	v_fma_f16 v8, v11, v15, -v8
	v_fma_f16 v15, v12, 0.5, v16
	v_fma_f16 v12, v12, 0.5, -v16
	v_fma_f16 v17, -v10, v14, v17
	v_fma_f16 v8, -v10, v14, v8
	v_fma_f16 v14, v10, v11, v15
	v_fma_f16 v15, -v10, v11, v12
	v_mov_b32_e32 v12, v6
	ds_write_b16 v20, v17 offset:2
	ds_write_b16 v13, v8 offset:1058
	v_mov_b32_e32 v11, v5
                                        ; implicit-def: $vgpr8
.LBB0_22:
	s_andn2_saveexec_b64 s[0:1], s[4:5]
	s_cbranch_execz .LBB0_24
; %bb.23:
	v_mov_b32_e32 v6, 0
	ds_write_b16 v20, v6 offset:2
	ds_write_b16 v13, v6 offset:1058
	ds_read_u16 v6, v0 offset:530
	v_mov_b32_e32 v11, 0
	s_waitcnt lgkmcnt(3)
	v_add_f16_sdwa v14, v8, v8 dst_sel:DWORD dst_unused:UNUSED_PAD src0_sel:WORD_1 src1_sel:DWORD
	v_sub_f16_sdwa v15, v8, v8 dst_sel:DWORD dst_unused:UNUSED_PAD src0_sel:DWORD src1_sel:WORD_1
	v_mov_b32_e32 v12, 0
	s_waitcnt lgkmcnt(0)
	v_xor_b32_e32 v6, 0x8000, v6
	ds_write_b16 v0, v6 offset:530
.LBB0_24:
	s_or_b64 exec, exec, s[0:1]
	s_waitcnt lgkmcnt(0)
	v_mov_b32_e32 v8, 0
	v_lshlrev_b64 v[6:7], 2, v[7:8]
	v_mov_b32_e32 v10, s13
	v_add_co_u32_e64 v6, s[0:1], s12, v6
	v_addc_co_u32_e64 v7, s[0:1], v10, v7, s[0:1]
	global_load_dword v16, v[6:7], off offset:1024
	v_mov_b32_e32 v10, v8
	v_lshlrev_b64 v[6:7], 2, v[9:10]
	v_mov_b32_e32 v17, s13
	v_add_co_u32_e64 v6, s[0:1], s12, v6
	v_addc_co_u32_e64 v7, s[0:1], v17, v7, s[0:1]
	global_load_dword v10, v[6:7], off offset:1024
	s_add_u32 s0, s12, 0x400
	v_lshlrev_b64 v[6:7], 2, v[11:12]
	s_addc_u32 s1, s13, 0
	v_mov_b32_e32 v11, s1
	v_add_co_u32_e64 v6, s[0:1], s0, v6
	v_addc_co_u32_e64 v7, s[0:1], v11, v7, s[0:1]
	global_load_dword v6, v[6:7], off offset:396
	ds_write_b16 v20, v14
	ds_write_b16 v13, v15 offset:1056
	ds_read_b32 v7, v21
	ds_read_b32 v11, v13 offset:924
	s_mov_b32 s0, 0xffff
	v_lshl_add_u32 v9, v9, 2, v0
	s_waitcnt lgkmcnt(0)
	v_pk_add_f16 v12, v7, v11 neg_lo:[0,1] neg_hi:[0,1]
	v_pk_add_f16 v7, v7, v11
	v_bfi_b32 v11, s0, v12, v7
	v_bfi_b32 v7, s0, v7, v12
	v_pk_mul_f16 v11, v11, 0.5 op_sel_hi:[1,0]
	v_pk_mul_f16 v7, v7, 0.5 op_sel_hi:[1,0]
	s_waitcnt vmcnt(2)
	v_pk_fma_f16 v12, v16, v11, v7 op_sel:[1,0,0]
	v_pk_mul_f16 v14, v16, v11 op_sel_hi:[0,1]
	v_pk_fma_f16 v15, v16, v11, v7 op_sel:[1,0,0] neg_lo:[1,0,0] neg_hi:[1,0,0]
	v_pk_fma_f16 v7, v16, v11, v7 op_sel:[1,0,0] neg_lo:[0,0,1] neg_hi:[0,0,1]
	v_pk_add_f16 v11, v12, v14 op_sel:[0,1] op_sel_hi:[1,0]
	v_pk_add_f16 v12, v12, v14 op_sel:[0,1] op_sel_hi:[1,0] neg_lo:[0,1] neg_hi:[0,1]
	v_pk_add_f16 v15, v15, v14 op_sel:[0,1] op_sel_hi:[1,0] neg_lo:[0,1] neg_hi:[0,1]
	;; [unrolled: 1-line block ×3, first 2 shown]
	v_bfi_b32 v11, s0, v11, v12
	v_bfi_b32 v7, s0, v15, v7
	ds_write_b32 v21, v11
	ds_write_b32 v13, v7 offset:924
	ds_read_b32 v7, v9
	ds_read_b32 v11, v13 offset:792
	s_waitcnt lgkmcnt(0)
	v_pk_add_f16 v12, v7, v11 neg_lo:[0,1] neg_hi:[0,1]
	v_pk_add_f16 v7, v7, v11
	v_bfi_b32 v11, s0, v12, v7
	v_bfi_b32 v7, s0, v7, v12
	v_pk_mul_f16 v11, v11, 0.5 op_sel_hi:[1,0]
	v_pk_mul_f16 v7, v7, 0.5 op_sel_hi:[1,0]
	s_waitcnt vmcnt(1)
	v_pk_fma_f16 v12, v10, v11, v7 op_sel:[1,0,0]
	v_pk_mul_f16 v14, v10, v11 op_sel_hi:[0,1]
	v_pk_fma_f16 v15, v10, v11, v7 op_sel:[1,0,0] neg_lo:[1,0,0] neg_hi:[1,0,0]
	v_pk_fma_f16 v7, v10, v11, v7 op_sel:[1,0,0] neg_lo:[0,0,1] neg_hi:[0,0,1]
	v_pk_add_f16 v10, v12, v14 op_sel:[0,1] op_sel_hi:[1,0]
	v_pk_add_f16 v11, v12, v14 op_sel:[0,1] op_sel_hi:[1,0] neg_lo:[0,1] neg_hi:[0,1]
	v_pk_add_f16 v12, v15, v14 op_sel:[0,1] op_sel_hi:[1,0] neg_lo:[0,1] neg_hi:[0,1]
	;; [unrolled: 1-line block ×3, first 2 shown]
	v_bfi_b32 v10, s0, v10, v11
	v_bfi_b32 v7, s0, v12, v7
	ds_write_b32 v9, v10
	ds_write_b32 v13, v7 offset:792
	ds_read_b32 v7, v20 offset:396
	ds_read_b32 v9, v13 offset:660
	s_waitcnt lgkmcnt(0)
	v_pk_add_f16 v10, v7, v9 neg_lo:[0,1] neg_hi:[0,1]
	v_pk_add_f16 v7, v7, v9
	v_bfi_b32 v9, s0, v10, v7
	v_bfi_b32 v7, s0, v7, v10
	v_pk_mul_f16 v9, v9, 0.5 op_sel_hi:[1,0]
	v_pk_mul_f16 v7, v7, 0.5 op_sel_hi:[1,0]
	s_waitcnt vmcnt(0)
	v_pk_fma_f16 v10, v6, v9, v7 op_sel:[1,0,0]
	v_pk_mul_f16 v11, v6, v9 op_sel_hi:[0,1]
	v_pk_fma_f16 v12, v6, v9, v7 op_sel:[1,0,0] neg_lo:[1,0,0] neg_hi:[1,0,0]
	v_pk_fma_f16 v6, v6, v9, v7 op_sel:[1,0,0] neg_lo:[0,0,1] neg_hi:[0,0,1]
	v_pk_add_f16 v7, v10, v11 op_sel:[0,1] op_sel_hi:[1,0]
	v_pk_add_f16 v9, v10, v11 op_sel:[0,1] op_sel_hi:[1,0] neg_lo:[0,1] neg_hi:[0,1]
	v_pk_add_f16 v10, v12, v11 op_sel:[0,1] op_sel_hi:[1,0] neg_lo:[0,1] neg_hi:[0,1]
	;; [unrolled: 1-line block ×3, first 2 shown]
	v_bfi_b32 v7, s0, v7, v9
	v_bfi_b32 v6, s0, v10, v6
	ds_write_b32 v20, v7 offset:396
	ds_write_b32 v13, v6 offset:660
	s_waitcnt lgkmcnt(0)
	s_barrier
	s_and_saveexec_b64 s[0:1], vcc
	s_cbranch_execz .LBB0_27
; %bb.25:
	v_mul_lo_u32 v6, s3, v3
	v_mul_lo_u32 v4, s2, v4
	v_mad_u64_u32 v[9:10], s[0:1], s2, v3, 0
	v_lshl_add_u32 v3, v5, 2, v0
	v_mov_b32_e32 v0, s11
	v_add3_u32 v10, v10, v4, v6
	v_lshlrev_b64 v[9:10], 2, v[9:10]
	v_mov_b32_e32 v6, v8
	v_add_co_u32_e32 v4, vcc, s10, v9
	v_addc_co_u32_e32 v7, vcc, v0, v10, vcc
	v_lshlrev_b64 v[0:1], 2, v[1:2]
	ds_read2_b32 v[11:12], v3 offset1:33
	v_add_co_u32_e32 v0, vcc, v4, v0
	v_addc_co_u32_e32 v1, vcc, v7, v1, vcc
	v_lshlrev_b64 v[6:7], 2, v[5:6]
	ds_read2_b32 v[9:10], v3 offset0:66 offset1:99
	v_add_co_u32_e32 v6, vcc, v0, v6
	v_addc_co_u32_e32 v7, vcc, v1, v7, vcc
	s_waitcnt lgkmcnt(1)
	global_store_dword v[6:7], v11, off
	v_add_u32_e32 v7, 33, v5
	v_lshlrev_b64 v[6:7], 2, v[7:8]
	v_add_co_u32_e32 v6, vcc, v0, v6
	v_addc_co_u32_e32 v7, vcc, v1, v7, vcc
	global_store_dword v[6:7], v12, off
	v_add_u32_e32 v7, 0x42, v5
	v_lshlrev_b64 v[6:7], 2, v[7:8]
	v_add_co_u32_e32 v6, vcc, v0, v6
	v_addc_co_u32_e32 v7, vcc, v1, v7, vcc
	s_waitcnt lgkmcnt(0)
	global_store_dword v[6:7], v9, off
	v_add_u32_e32 v7, 0x63, v5
	v_lshlrev_b64 v[6:7], 2, v[7:8]
	v_add_co_u32_e32 v6, vcc, v0, v6
	v_addc_co_u32_e32 v7, vcc, v1, v7, vcc
	global_store_dword v[6:7], v10, off
	v_add_u32_e32 v7, 0x84, v5
	ds_read2_b32 v[9:10], v3 offset0:132 offset1:165
	v_lshlrev_b64 v[6:7], 2, v[7:8]
	v_add_co_u32_e32 v6, vcc, v0, v6
	v_addc_co_u32_e32 v7, vcc, v1, v7, vcc
	s_waitcnt lgkmcnt(0)
	global_store_dword v[6:7], v9, off
	v_add_u32_e32 v7, 0xa5, v5
	v_lshlrev_b64 v[6:7], 2, v[7:8]
	v_add_co_u32_e32 v6, vcc, v0, v6
	v_addc_co_u32_e32 v7, vcc, v1, v7, vcc
	global_store_dword v[6:7], v10, off
	v_add_u32_e32 v7, 0xc6, v5
	ds_read2_b32 v[9:10], v3 offset0:198 offset1:231
	v_lshlrev_b64 v[6:7], 2, v[7:8]
	v_add_co_u32_e32 v6, vcc, v0, v6
	v_addc_co_u32_e32 v7, vcc, v1, v7, vcc
	s_waitcnt lgkmcnt(0)
	global_store_dword v[6:7], v9, off
	v_add_u32_e32 v7, 0xe7, v5
	v_lshlrev_b64 v[6:7], 2, v[7:8]
	v_add_co_u32_e32 v6, vcc, v0, v6
	v_addc_co_u32_e32 v7, vcc, v1, v7, vcc
	v_cmp_eq_u32_e32 vcc, 32, v5
	global_store_dword v[6:7], v10, off
	s_and_b64 exec, exec, vcc
	s_cbranch_execz .LBB0_27
; %bb.26:
	ds_read_b32 v2, v3 offset:928
	s_waitcnt lgkmcnt(0)
	global_store_dword v[0:1], v2, off offset:1056
.LBB0_27:
	s_endpgm
	.section	.rodata,"a",@progbits
	.p2align	6, 0x0
	.amdhsa_kernel fft_rtc_fwd_len264_factors_8_3_11_wgs_231_tpt_33_half_op_CI_CI_unitstride_sbrr_R2C_dirReg
		.amdhsa_group_segment_fixed_size 0
		.amdhsa_private_segment_fixed_size 0
		.amdhsa_kernarg_size 104
		.amdhsa_user_sgpr_count 6
		.amdhsa_user_sgpr_private_segment_buffer 1
		.amdhsa_user_sgpr_dispatch_ptr 0
		.amdhsa_user_sgpr_queue_ptr 0
		.amdhsa_user_sgpr_kernarg_segment_ptr 1
		.amdhsa_user_sgpr_dispatch_id 0
		.amdhsa_user_sgpr_flat_scratch_init 0
		.amdhsa_user_sgpr_private_segment_size 0
		.amdhsa_uses_dynamic_stack 0
		.amdhsa_system_sgpr_private_segment_wavefront_offset 0
		.amdhsa_system_sgpr_workgroup_id_x 1
		.amdhsa_system_sgpr_workgroup_id_y 0
		.amdhsa_system_sgpr_workgroup_id_z 0
		.amdhsa_system_sgpr_workgroup_info 0
		.amdhsa_system_vgpr_workitem_id 0
		.amdhsa_next_free_vgpr 89
		.amdhsa_next_free_sgpr 28
		.amdhsa_reserve_vcc 1
		.amdhsa_reserve_flat_scratch 0
		.amdhsa_float_round_mode_32 0
		.amdhsa_float_round_mode_16_64 0
		.amdhsa_float_denorm_mode_32 3
		.amdhsa_float_denorm_mode_16_64 3
		.amdhsa_dx10_clamp 1
		.amdhsa_ieee_mode 1
		.amdhsa_fp16_overflow 0
		.amdhsa_exception_fp_ieee_invalid_op 0
		.amdhsa_exception_fp_denorm_src 0
		.amdhsa_exception_fp_ieee_div_zero 0
		.amdhsa_exception_fp_ieee_overflow 0
		.amdhsa_exception_fp_ieee_underflow 0
		.amdhsa_exception_fp_ieee_inexact 0
		.amdhsa_exception_int_div_zero 0
	.end_amdhsa_kernel
	.text
.Lfunc_end0:
	.size	fft_rtc_fwd_len264_factors_8_3_11_wgs_231_tpt_33_half_op_CI_CI_unitstride_sbrr_R2C_dirReg, .Lfunc_end0-fft_rtc_fwd_len264_factors_8_3_11_wgs_231_tpt_33_half_op_CI_CI_unitstride_sbrr_R2C_dirReg
                                        ; -- End function
	.section	.AMDGPU.csdata,"",@progbits
; Kernel info:
; codeLenInByte = 6876
; NumSgprs: 32
; NumVgprs: 89
; ScratchSize: 0
; MemoryBound: 0
; FloatMode: 240
; IeeeMode: 1
; LDSByteSize: 0 bytes/workgroup (compile time only)
; SGPRBlocks: 3
; VGPRBlocks: 22
; NumSGPRsForWavesPerEU: 32
; NumVGPRsForWavesPerEU: 89
; Occupancy: 2
; WaveLimiterHint : 1
; COMPUTE_PGM_RSRC2:SCRATCH_EN: 0
; COMPUTE_PGM_RSRC2:USER_SGPR: 6
; COMPUTE_PGM_RSRC2:TRAP_HANDLER: 0
; COMPUTE_PGM_RSRC2:TGID_X_EN: 1
; COMPUTE_PGM_RSRC2:TGID_Y_EN: 0
; COMPUTE_PGM_RSRC2:TGID_Z_EN: 0
; COMPUTE_PGM_RSRC2:TIDIG_COMP_CNT: 0
	.type	__hip_cuid_cfbd20755b91feb3,@object ; @__hip_cuid_cfbd20755b91feb3
	.section	.bss,"aw",@nobits
	.globl	__hip_cuid_cfbd20755b91feb3
__hip_cuid_cfbd20755b91feb3:
	.byte	0                               ; 0x0
	.size	__hip_cuid_cfbd20755b91feb3, 1

	.ident	"AMD clang version 19.0.0git (https://github.com/RadeonOpenCompute/llvm-project roc-6.4.0 25133 c7fe45cf4b819c5991fe208aaa96edf142730f1d)"
	.section	".note.GNU-stack","",@progbits
	.addrsig
	.addrsig_sym __hip_cuid_cfbd20755b91feb3
	.amdgpu_metadata
---
amdhsa.kernels:
  - .args:
      - .actual_access:  read_only
        .address_space:  global
        .offset:         0
        .size:           8
        .value_kind:     global_buffer
      - .offset:         8
        .size:           8
        .value_kind:     by_value
      - .actual_access:  read_only
        .address_space:  global
        .offset:         16
        .size:           8
        .value_kind:     global_buffer
      - .actual_access:  read_only
        .address_space:  global
        .offset:         24
        .size:           8
        .value_kind:     global_buffer
      - .actual_access:  read_only
        .address_space:  global
        .offset:         32
        .size:           8
        .value_kind:     global_buffer
      - .offset:         40
        .size:           8
        .value_kind:     by_value
      - .actual_access:  read_only
        .address_space:  global
        .offset:         48
        .size:           8
        .value_kind:     global_buffer
      - .actual_access:  read_only
        .address_space:  global
        .offset:         56
        .size:           8
        .value_kind:     global_buffer
      - .offset:         64
        .size:           4
        .value_kind:     by_value
      - .actual_access:  read_only
        .address_space:  global
        .offset:         72
        .size:           8
        .value_kind:     global_buffer
      - .actual_access:  read_only
        .address_space:  global
        .offset:         80
        .size:           8
        .value_kind:     global_buffer
      - .actual_access:  read_only
        .address_space:  global
        .offset:         88
        .size:           8
        .value_kind:     global_buffer
      - .actual_access:  write_only
        .address_space:  global
        .offset:         96
        .size:           8
        .value_kind:     global_buffer
    .group_segment_fixed_size: 0
    .kernarg_segment_align: 8
    .kernarg_segment_size: 104
    .language:       OpenCL C
    .language_version:
      - 2
      - 0
    .max_flat_workgroup_size: 231
    .name:           fft_rtc_fwd_len264_factors_8_3_11_wgs_231_tpt_33_half_op_CI_CI_unitstride_sbrr_R2C_dirReg
    .private_segment_fixed_size: 0
    .sgpr_count:     32
    .sgpr_spill_count: 0
    .symbol:         fft_rtc_fwd_len264_factors_8_3_11_wgs_231_tpt_33_half_op_CI_CI_unitstride_sbrr_R2C_dirReg.kd
    .uniform_work_group_size: 1
    .uses_dynamic_stack: false
    .vgpr_count:     89
    .vgpr_spill_count: 0
    .wavefront_size: 64
amdhsa.target:   amdgcn-amd-amdhsa--gfx906
amdhsa.version:
  - 1
  - 2
...

	.end_amdgpu_metadata
